;; amdgpu-corpus repo=zjin-lcf/HeCBench kind=compiled arch=gfx906 opt=O3
	.amdgcn_target "amdgcn-amd-amdhsa--gfx906"
	.amdhsa_code_object_version 6
	.section	.text._Z4hmaxI7__half2EvPKT_S3_PS1_m,"axG",@progbits,_Z4hmaxI7__half2EvPKT_S3_PS1_m,comdat
	.protected	_Z4hmaxI7__half2EvPKT_S3_PS1_m ; -- Begin function _Z4hmaxI7__half2EvPKT_S3_PS1_m
	.globl	_Z4hmaxI7__half2EvPKT_S3_PS1_m
	.p2align	8
	.type	_Z4hmaxI7__half2EvPKT_S3_PS1_m,@function
_Z4hmaxI7__half2EvPKT_S3_PS1_m:         ; @_Z4hmaxI7__half2EvPKT_S3_PS1_m
; %bb.0:
	s_load_dword s0, s[6:7], 0x2c
	s_load_dwordx2 s[10:11], s[6:7], 0x18
	s_add_u32 s12, s6, 32
	s_addc_u32 s13, s7, 0
	v_mov_b32_e32 v4, 0
	s_waitcnt lgkmcnt(0)
	s_and_b32 s14, s0, 0xffff
	s_mul_i32 s8, s8, s14
	v_add_u32_e32 v3, s8, v0
	v_cmp_gt_u64_e32 vcc, s[10:11], v[3:4]
	s_and_saveexec_b64 s[0:1], vcc
	s_cbranch_execz .LBB0_3
; %bb.1:
	s_load_dwordx2 s[16:17], s[4:5], 0x4
	s_load_dwordx4 s[0:3], s[6:7], 0x0
	s_load_dwordx2 s[8:9], s[6:7], 0x10
	s_load_dword s15, s[12:13], 0x0
	s_mov_b32 s5, 0
	s_waitcnt lgkmcnt(0)
	s_lshr_b32 s4, s16, 16
	s_mul_i32 s4, s4, s17
	v_mul_lo_u32 v0, s4, v0
	s_mul_i32 s4, s15, s14
	v_lshlrev_b64 v[5:6], 2, v[3:4]
	s_lshl_b64 s[6:7], s[4:5], 2
	v_mad_u32_u24 v0, v1, s17, v0
	v_add_lshl_u32 v0, v0, v2, 3
	s_mov_b64 s[12:13], 0
	v_mov_b32_e32 v1, s1
	v_mov_b32_e32 v2, s3
	;; [unrolled: 1-line block ×4, first 2 shown]
.LBB0_2:                                ; =>This Inner Loop Header: Depth=1
	v_add_co_u32_e32 v9, vcc, s0, v5
	v_addc_co_u32_e32 v10, vcc, v1, v6, vcc
	v_add_co_u32_e32 v11, vcc, s2, v5
	v_addc_co_u32_e32 v12, vcc, v2, v6, vcc
	global_load_dword v13, v[9:10], off
	global_load_dword v14, v[11:12], off
	v_add_co_u32_e32 v9, vcc, s8, v5
	v_addc_co_u32_e32 v10, vcc, v7, v6, vcc
	v_add_co_u32_e32 v3, vcc, s4, v3
	v_addc_co_u32_e32 v4, vcc, 0, v4, vcc
	;; [unrolled: 2-line block ×3, first 2 shown]
	v_cmp_le_u64_e32 vcc, s[10:11], v[3:4]
	s_or_b64 s[12:13], vcc, s[12:13]
	s_waitcnt vmcnt(0)
	v_pk_add_f16 v11, v13, v14 neg_lo:[0,1] neg_hi:[0,1]
	v_and_b32_e32 v11, 0x80008000, v11
	v_lshrrev_b32_e32 v12, 21, v11
	v_lshrrev_b32_e32 v11, 13, v11
	v_or_b32_e32 v11, v12, v11
	v_mul_u32_u24_e32 v11, 17, v11
	v_or_b32_e32 v12, 0x3210, v11
	ds_write_b64 v0, v[13:14]
	v_and_b32_e32 v11, 4, v11
	v_bfe_u32 v13, v12, 4, 3
	v_bfe_u32 v14, v12, 8, 3
	;; [unrolled: 1-line block ×3, first 2 shown]
	v_add_u32_e32 v11, v0, v11
	v_add_u32_e32 v13, v0, v13
	;; [unrolled: 1-line block ×4, first 2 shown]
	ds_read_u8 v11, v11
	ds_read_u8 v13, v13
	;; [unrolled: 1-line block ×4, first 2 shown]
	s_waitcnt lgkmcnt(2)
	v_lshl_or_b32 v11, v13, 8, v11
	s_waitcnt lgkmcnt(1)
	v_lshlrev_b32_e32 v13, 16, v14
	s_waitcnt lgkmcnt(0)
	v_lshlrev_b32_e32 v12, 24, v12
	v_or3_b32 v11, v11, v13, v12
	global_store_dword v[9:10], v11, off
	s_andn2_b64 exec, exec, s[12:13]
	s_cbranch_execnz .LBB0_2
.LBB0_3:
	s_endpgm
	.section	.rodata,"a",@progbits
	.p2align	6, 0x0
	.amdhsa_kernel _Z4hmaxI7__half2EvPKT_S3_PS1_m
		.amdhsa_group_segment_fixed_size 8192
		.amdhsa_private_segment_fixed_size 0
		.amdhsa_kernarg_size 288
		.amdhsa_user_sgpr_count 8
		.amdhsa_user_sgpr_private_segment_buffer 1
		.amdhsa_user_sgpr_dispatch_ptr 1
		.amdhsa_user_sgpr_queue_ptr 0
		.amdhsa_user_sgpr_kernarg_segment_ptr 1
		.amdhsa_user_sgpr_dispatch_id 0
		.amdhsa_user_sgpr_flat_scratch_init 0
		.amdhsa_user_sgpr_private_segment_size 0
		.amdhsa_uses_dynamic_stack 0
		.amdhsa_system_sgpr_private_segment_wavefront_offset 0
		.amdhsa_system_sgpr_workgroup_id_x 1
		.amdhsa_system_sgpr_workgroup_id_y 0
		.amdhsa_system_sgpr_workgroup_id_z 0
		.amdhsa_system_sgpr_workgroup_info 0
		.amdhsa_system_vgpr_workitem_id 2
		.amdhsa_next_free_vgpr 15
		.amdhsa_next_free_sgpr 18
		.amdhsa_reserve_vcc 1
		.amdhsa_reserve_flat_scratch 0
		.amdhsa_float_round_mode_32 0
		.amdhsa_float_round_mode_16_64 0
		.amdhsa_float_denorm_mode_32 3
		.amdhsa_float_denorm_mode_16_64 3
		.amdhsa_dx10_clamp 1
		.amdhsa_ieee_mode 1
		.amdhsa_fp16_overflow 0
		.amdhsa_exception_fp_ieee_invalid_op 0
		.amdhsa_exception_fp_denorm_src 0
		.amdhsa_exception_fp_ieee_div_zero 0
		.amdhsa_exception_fp_ieee_overflow 0
		.amdhsa_exception_fp_ieee_underflow 0
		.amdhsa_exception_fp_ieee_inexact 0
		.amdhsa_exception_int_div_zero 0
	.end_amdhsa_kernel
	.section	.text._Z4hmaxI7__half2EvPKT_S3_PS1_m,"axG",@progbits,_Z4hmaxI7__half2EvPKT_S3_PS1_m,comdat
.Lfunc_end0:
	.size	_Z4hmaxI7__half2EvPKT_S3_PS1_m, .Lfunc_end0-_Z4hmaxI7__half2EvPKT_S3_PS1_m
                                        ; -- End function
	.set _Z4hmaxI7__half2EvPKT_S3_PS1_m.num_vgpr, 15
	.set _Z4hmaxI7__half2EvPKT_S3_PS1_m.num_agpr, 0
	.set _Z4hmaxI7__half2EvPKT_S3_PS1_m.numbered_sgpr, 18
	.set _Z4hmaxI7__half2EvPKT_S3_PS1_m.num_named_barrier, 0
	.set _Z4hmaxI7__half2EvPKT_S3_PS1_m.private_seg_size, 0
	.set _Z4hmaxI7__half2EvPKT_S3_PS1_m.uses_vcc, 1
	.set _Z4hmaxI7__half2EvPKT_S3_PS1_m.uses_flat_scratch, 0
	.set _Z4hmaxI7__half2EvPKT_S3_PS1_m.has_dyn_sized_stack, 0
	.set _Z4hmaxI7__half2EvPKT_S3_PS1_m.has_recursion, 0
	.set _Z4hmaxI7__half2EvPKT_S3_PS1_m.has_indirect_call, 0
	.section	.AMDGPU.csdata,"",@progbits
; Kernel info:
; codeLenInByte = 416
; TotalNumSgprs: 22
; NumVgprs: 15
; ScratchSize: 0
; MemoryBound: 0
; FloatMode: 240
; IeeeMode: 1
; LDSByteSize: 8192 bytes/workgroup (compile time only)
; SGPRBlocks: 2
; VGPRBlocks: 3
; NumSGPRsForWavesPerEU: 22
; NumVGPRsForWavesPerEU: 15
; Occupancy: 8
; WaveLimiterHint : 0
; COMPUTE_PGM_RSRC2:SCRATCH_EN: 0
; COMPUTE_PGM_RSRC2:USER_SGPR: 8
; COMPUTE_PGM_RSRC2:TRAP_HANDLER: 0
; COMPUTE_PGM_RSRC2:TGID_X_EN: 1
; COMPUTE_PGM_RSRC2:TGID_Y_EN: 0
; COMPUTE_PGM_RSRC2:TGID_Z_EN: 0
; COMPUTE_PGM_RSRC2:TIDIG_COMP_CNT: 2
	.section	.text._Z4hmaxI6__halfEvPKT_S3_PS1_m,"axG",@progbits,_Z4hmaxI6__halfEvPKT_S3_PS1_m,comdat
	.protected	_Z4hmaxI6__halfEvPKT_S3_PS1_m ; -- Begin function _Z4hmaxI6__halfEvPKT_S3_PS1_m
	.globl	_Z4hmaxI6__halfEvPKT_S3_PS1_m
	.p2align	8
	.type	_Z4hmaxI6__halfEvPKT_S3_PS1_m,@function
_Z4hmaxI6__halfEvPKT_S3_PS1_m:          ; @_Z4hmaxI6__halfEvPKT_S3_PS1_m
; %bb.0:
	s_load_dword s0, s[6:7], 0x2c
	s_load_dwordx2 s[10:11], s[6:7], 0x18
	s_add_u32 s12, s6, 32
	s_addc_u32 s13, s7, 0
	v_mov_b32_e32 v4, 0
	s_waitcnt lgkmcnt(0)
	s_and_b32 s14, s0, 0xffff
	s_mul_i32 s8, s8, s14
	v_add_u32_e32 v3, s8, v0
	v_cmp_gt_u64_e32 vcc, s[10:11], v[3:4]
	s_and_saveexec_b64 s[0:1], vcc
	s_cbranch_execz .LBB1_3
; %bb.1:
	s_load_dwordx2 s[16:17], s[4:5], 0x4
	s_load_dwordx4 s[0:3], s[6:7], 0x0
	s_load_dwordx2 s[8:9], s[6:7], 0x10
	s_load_dword s15, s[12:13], 0x0
	s_mov_b32 s5, 0
	s_waitcnt lgkmcnt(0)
	s_lshr_b32 s4, s16, 16
	s_mul_i32 s4, s4, s17
	v_mul_lo_u32 v0, s4, v0
	s_mul_i32 s4, s15, s14
	v_lshlrev_b64 v[5:6], 1, v[3:4]
	s_lshl_b64 s[6:7], s[4:5], 1
	v_mad_u32_u24 v0, v1, s17, v0
	v_add_lshl_u32 v0, v0, v2, 3
	s_mov_b64 s[12:13], 0
	v_mov_b32_e32 v1, s1
	v_mov_b32_e32 v2, s3
	;; [unrolled: 1-line block ×5, first 2 shown]
.LBB1_2:                                ; =>This Inner Loop Header: Depth=1
	v_add_co_u32_e32 v10, vcc, s0, v5
	v_addc_co_u32_e32 v11, vcc, v1, v6, vcc
	v_add_co_u32_e32 v12, vcc, s2, v5
	v_addc_co_u32_e32 v13, vcc, v2, v6, vcc
	global_load_ushort v14, v[10:11], off
	global_load_ushort v15, v[12:13], off
	v_add_co_u32_e32 v10, vcc, s8, v5
	v_addc_co_u32_e32 v11, vcc, v7, v6, vcc
	v_add_co_u32_e32 v3, vcc, s4, v3
	v_addc_co_u32_e32 v4, vcc, 0, v4, vcc
	;; [unrolled: 2-line block ×3, first 2 shown]
	v_cmp_le_u64_e32 vcc, s[10:11], v[3:4]
	s_or_b64 s[12:13], vcc, s[12:13]
	s_waitcnt vmcnt(1)
	v_bfe_i32 v12, v14, 0, 16
	s_waitcnt vmcnt(0)
	v_sub_f16_e32 v16, v14, v15
	v_bfe_i32 v13, v15, 0, 16
	v_lshrrev_b16_e32 v14, 13, v16
	ds_write_b64 v0, v[12:13]
	v_and_b32_e32 v12, 4, v14
	v_mul_lo_u16_e32 v12, 17, v12
	v_or_b32_e32 v12, 16, v12
	v_and_b32_sdwa v13, v12, v9 dst_sel:DWORD dst_unused:UNUSED_PAD src0_sel:WORD_0 src1_sel:DWORD
	v_lshrrev_b32_sdwa v12, v9, v12 dst_sel:DWORD dst_unused:UNUSED_PAD src0_sel:DWORD src1_sel:WORD_0
	v_add_u32_e32 v13, v0, v13
	v_add_u32_e32 v12, v0, v12
	ds_read_u8 v13, v13
	ds_read_u8 v12, v12
	s_waitcnt lgkmcnt(0)
	v_lshlrev_b16_e32 v12, 8, v12
	v_or_b32_e32 v12, v12, v13
	global_store_short v[10:11], v12, off
	s_andn2_b64 exec, exec, s[12:13]
	s_cbranch_execnz .LBB1_2
.LBB1_3:
	s_endpgm
	.section	.rodata,"a",@progbits
	.p2align	6, 0x0
	.amdhsa_kernel _Z4hmaxI6__halfEvPKT_S3_PS1_m
		.amdhsa_group_segment_fixed_size 8192
		.amdhsa_private_segment_fixed_size 0
		.amdhsa_kernarg_size 288
		.amdhsa_user_sgpr_count 8
		.amdhsa_user_sgpr_private_segment_buffer 1
		.amdhsa_user_sgpr_dispatch_ptr 1
		.amdhsa_user_sgpr_queue_ptr 0
		.amdhsa_user_sgpr_kernarg_segment_ptr 1
		.amdhsa_user_sgpr_dispatch_id 0
		.amdhsa_user_sgpr_flat_scratch_init 0
		.amdhsa_user_sgpr_private_segment_size 0
		.amdhsa_uses_dynamic_stack 0
		.amdhsa_system_sgpr_private_segment_wavefront_offset 0
		.amdhsa_system_sgpr_workgroup_id_x 1
		.amdhsa_system_sgpr_workgroup_id_y 0
		.amdhsa_system_sgpr_workgroup_id_z 0
		.amdhsa_system_sgpr_workgroup_info 0
		.amdhsa_system_vgpr_workitem_id 2
		.amdhsa_next_free_vgpr 17
		.amdhsa_next_free_sgpr 18
		.amdhsa_reserve_vcc 1
		.amdhsa_reserve_flat_scratch 0
		.amdhsa_float_round_mode_32 0
		.amdhsa_float_round_mode_16_64 0
		.amdhsa_float_denorm_mode_32 3
		.amdhsa_float_denorm_mode_16_64 3
		.amdhsa_dx10_clamp 1
		.amdhsa_ieee_mode 1
		.amdhsa_fp16_overflow 0
		.amdhsa_exception_fp_ieee_invalid_op 0
		.amdhsa_exception_fp_denorm_src 0
		.amdhsa_exception_fp_ieee_div_zero 0
		.amdhsa_exception_fp_ieee_overflow 0
		.amdhsa_exception_fp_ieee_underflow 0
		.amdhsa_exception_fp_ieee_inexact 0
		.amdhsa_exception_int_div_zero 0
	.end_amdhsa_kernel
	.section	.text._Z4hmaxI6__halfEvPKT_S3_PS1_m,"axG",@progbits,_Z4hmaxI6__halfEvPKT_S3_PS1_m,comdat
.Lfunc_end1:
	.size	_Z4hmaxI6__halfEvPKT_S3_PS1_m, .Lfunc_end1-_Z4hmaxI6__halfEvPKT_S3_PS1_m
                                        ; -- End function
	.set _Z4hmaxI6__halfEvPKT_S3_PS1_m.num_vgpr, 17
	.set _Z4hmaxI6__halfEvPKT_S3_PS1_m.num_agpr, 0
	.set _Z4hmaxI6__halfEvPKT_S3_PS1_m.numbered_sgpr, 18
	.set _Z4hmaxI6__halfEvPKT_S3_PS1_m.num_named_barrier, 0
	.set _Z4hmaxI6__halfEvPKT_S3_PS1_m.private_seg_size, 0
	.set _Z4hmaxI6__halfEvPKT_S3_PS1_m.uses_vcc, 1
	.set _Z4hmaxI6__halfEvPKT_S3_PS1_m.uses_flat_scratch, 0
	.set _Z4hmaxI6__halfEvPKT_S3_PS1_m.has_dyn_sized_stack, 0
	.set _Z4hmaxI6__halfEvPKT_S3_PS1_m.has_recursion, 0
	.set _Z4hmaxI6__halfEvPKT_S3_PS1_m.has_indirect_call, 0
	.section	.AMDGPU.csdata,"",@progbits
; Kernel info:
; codeLenInByte = 360
; TotalNumSgprs: 22
; NumVgprs: 17
; ScratchSize: 0
; MemoryBound: 0
; FloatMode: 240
; IeeeMode: 1
; LDSByteSize: 8192 bytes/workgroup (compile time only)
; SGPRBlocks: 2
; VGPRBlocks: 4
; NumSGPRsForWavesPerEU: 22
; NumVGPRsForWavesPerEU: 17
; Occupancy: 8
; WaveLimiterHint : 0
; COMPUTE_PGM_RSRC2:SCRATCH_EN: 0
; COMPUTE_PGM_RSRC2:USER_SGPR: 8
; COMPUTE_PGM_RSRC2:TRAP_HANDLER: 0
; COMPUTE_PGM_RSRC2:TGID_X_EN: 1
; COMPUTE_PGM_RSRC2:TGID_Y_EN: 0
; COMPUTE_PGM_RSRC2:TGID_Z_EN: 0
; COMPUTE_PGM_RSRC2:TIDIG_COMP_CNT: 2
	.section	.AMDGPU.gpr_maximums,"",@progbits
	.set amdgpu.max_num_vgpr, 0
	.set amdgpu.max_num_agpr, 0
	.set amdgpu.max_num_sgpr, 0
	.section	.AMDGPU.csdata,"",@progbits
	.type	__hip_cuid_6c7ad41dc082f801,@object ; @__hip_cuid_6c7ad41dc082f801
	.section	.bss,"aw",@nobits
	.globl	__hip_cuid_6c7ad41dc082f801
__hip_cuid_6c7ad41dc082f801:
	.byte	0                               ; 0x0
	.size	__hip_cuid_6c7ad41dc082f801, 1

	.ident	"AMD clang version 22.0.0git (https://github.com/RadeonOpenCompute/llvm-project roc-7.2.4 26084 f58b06dce1f9c15707c5f808fd002e18c2accf7e)"
	.section	".note.GNU-stack","",@progbits
	.addrsig
	.addrsig_sym __hip_cuid_6c7ad41dc082f801
	.amdgpu_metadata
---
amdhsa.kernels:
  - .args:
      - .actual_access:  read_only
        .address_space:  global
        .offset:         0
        .size:           8
        .value_kind:     global_buffer
      - .actual_access:  read_only
        .address_space:  global
        .offset:         8
        .size:           8
        .value_kind:     global_buffer
      - .actual_access:  write_only
        .address_space:  global
        .offset:         16
        .size:           8
        .value_kind:     global_buffer
      - .offset:         24
        .size:           8
        .value_kind:     by_value
      - .offset:         32
        .size:           4
        .value_kind:     hidden_block_count_x
      - .offset:         36
        .size:           4
        .value_kind:     hidden_block_count_y
      - .offset:         40
        .size:           4
        .value_kind:     hidden_block_count_z
      - .offset:         44
        .size:           2
        .value_kind:     hidden_group_size_x
      - .offset:         46
        .size:           2
        .value_kind:     hidden_group_size_y
      - .offset:         48
        .size:           2
        .value_kind:     hidden_group_size_z
      - .offset:         50
        .size:           2
        .value_kind:     hidden_remainder_x
      - .offset:         52
        .size:           2
        .value_kind:     hidden_remainder_y
      - .offset:         54
        .size:           2
        .value_kind:     hidden_remainder_z
      - .offset:         72
        .size:           8
        .value_kind:     hidden_global_offset_x
      - .offset:         80
        .size:           8
        .value_kind:     hidden_global_offset_y
      - .offset:         88
        .size:           8
        .value_kind:     hidden_global_offset_z
      - .offset:         96
        .size:           2
        .value_kind:     hidden_grid_dims
    .group_segment_fixed_size: 8192
    .kernarg_segment_align: 8
    .kernarg_segment_size: 288
    .language:       OpenCL C
    .language_version:
      - 2
      - 0
    .max_flat_workgroup_size: 1024
    .name:           _Z4hmaxI7__half2EvPKT_S3_PS1_m
    .private_segment_fixed_size: 0
    .sgpr_count:     22
    .sgpr_spill_count: 0
    .symbol:         _Z4hmaxI7__half2EvPKT_S3_PS1_m.kd
    .uniform_work_group_size: 1
    .uses_dynamic_stack: false
    .vgpr_count:     15
    .vgpr_spill_count: 0
    .wavefront_size: 64
  - .args:
      - .actual_access:  read_only
        .address_space:  global
        .offset:         0
        .size:           8
        .value_kind:     global_buffer
      - .actual_access:  read_only
        .address_space:  global
        .offset:         8
        .size:           8
        .value_kind:     global_buffer
      - .actual_access:  write_only
        .address_space:  global
        .offset:         16
        .size:           8
        .value_kind:     global_buffer
      - .offset:         24
        .size:           8
        .value_kind:     by_value
      - .offset:         32
        .size:           4
        .value_kind:     hidden_block_count_x
      - .offset:         36
        .size:           4
        .value_kind:     hidden_block_count_y
      - .offset:         40
        .size:           4
        .value_kind:     hidden_block_count_z
      - .offset:         44
        .size:           2
        .value_kind:     hidden_group_size_x
      - .offset:         46
        .size:           2
        .value_kind:     hidden_group_size_y
      - .offset:         48
        .size:           2
        .value_kind:     hidden_group_size_z
      - .offset:         50
        .size:           2
        .value_kind:     hidden_remainder_x
      - .offset:         52
        .size:           2
        .value_kind:     hidden_remainder_y
      - .offset:         54
        .size:           2
        .value_kind:     hidden_remainder_z
      - .offset:         72
        .size:           8
        .value_kind:     hidden_global_offset_x
      - .offset:         80
        .size:           8
        .value_kind:     hidden_global_offset_y
      - .offset:         88
        .size:           8
        .value_kind:     hidden_global_offset_z
      - .offset:         96
        .size:           2
        .value_kind:     hidden_grid_dims
    .group_segment_fixed_size: 8192
    .kernarg_segment_align: 8
    .kernarg_segment_size: 288
    .language:       OpenCL C
    .language_version:
      - 2
      - 0
    .max_flat_workgroup_size: 1024
    .name:           _Z4hmaxI6__halfEvPKT_S3_PS1_m
    .private_segment_fixed_size: 0
    .sgpr_count:     22
    .sgpr_spill_count: 0
    .symbol:         _Z4hmaxI6__halfEvPKT_S3_PS1_m.kd
    .uniform_work_group_size: 1
    .uses_dynamic_stack: false
    .vgpr_count:     17
    .vgpr_spill_count: 0
    .wavefront_size: 64
amdhsa.target:   amdgcn-amd-amdhsa--gfx906
amdhsa.version:
  - 1
  - 2
...

	.end_amdgpu_metadata
